;; amdgpu-corpus repo=ROCm/rocFFT kind=compiled arch=gfx1201 opt=O3
	.text
	.amdgcn_target "amdgcn-amd-amdhsa--gfx1201"
	.amdhsa_code_object_version 6
	.protected	fft_rtc_back_len220_factors_10_2_11_wgs_110_tpt_22_sp_ip_CI_sbrr_dirReg ; -- Begin function fft_rtc_back_len220_factors_10_2_11_wgs_110_tpt_22_sp_ip_CI_sbrr_dirReg
	.globl	fft_rtc_back_len220_factors_10_2_11_wgs_110_tpt_22_sp_ip_CI_sbrr_dirReg
	.p2align	8
	.type	fft_rtc_back_len220_factors_10_2_11_wgs_110_tpt_22_sp_ip_CI_sbrr_dirReg,@function
fft_rtc_back_len220_factors_10_2_11_wgs_110_tpt_22_sp_ip_CI_sbrr_dirReg: ; @fft_rtc_back_len220_factors_10_2_11_wgs_110_tpt_22_sp_ip_CI_sbrr_dirReg
; %bb.0:
	s_clause 0x1
	s_load_b64 s[12:13], s[0:1], 0x18
	s_load_b128 s[4:7], s[0:1], 0x0
	v_mul_u32_u24_e32 v1, 0xba3, v0
	v_mov_b32_e32 v5, 0
	s_load_b64 s[10:11], s[0:1], 0x50
	s_wait_kmcnt 0x0
	s_load_b64 s[8:9], s[12:13], 0x0
	v_lshrrev_b32_e32 v1, 16, v1
	v_cmp_lt_u64_e64 s2, s[6:7], 2
	s_delay_alu instid0(VALU_DEP_2) | instskip(SKIP_4) | instid1(VALU_DEP_1)
	v_mad_co_u64_u32 v[1:2], null, ttmp9, 5, v[1:2]
	v_mov_b32_e32 v3, 0
	v_mov_b32_e32 v4, 0
	;; [unrolled: 1-line block ×3, first 2 shown]
	s_and_b32 vcc_lo, exec_lo, s2
	v_dual_mov_b32 v10, v2 :: v_dual_mov_b32 v9, v1
	s_cbranch_vccnz .LBB0_8
; %bb.1:
	s_load_b64 s[2:3], s[0:1], 0x10
	v_dual_mov_b32 v3, 0 :: v_dual_mov_b32 v8, v2
	v_dual_mov_b32 v4, 0 :: v_dual_mov_b32 v7, v1
	s_add_nc_u64 s[14:15], s[12:13], 8
	s_mov_b64 s[16:17], 1
	s_wait_kmcnt 0x0
	s_add_nc_u64 s[18:19], s[2:3], 8
	s_mov_b32 s3, 0
.LBB0_2:                                ; =>This Inner Loop Header: Depth=1
	s_load_b64 s[20:21], s[18:19], 0x0
                                        ; implicit-def: $vgpr9_vgpr10
	s_mov_b32 s2, exec_lo
	s_wait_kmcnt 0x0
	v_or_b32_e32 v6, s21, v8
	s_delay_alu instid0(VALU_DEP_1)
	v_cmpx_ne_u64_e32 0, v[5:6]
	s_wait_alu 0xfffe
	s_xor_b32 s22, exec_lo, s2
	s_cbranch_execz .LBB0_4
; %bb.3:                                ;   in Loop: Header=BB0_2 Depth=1
	s_cvt_f32_u32 s2, s20
	s_cvt_f32_u32 s23, s21
	s_sub_nc_u64 s[26:27], 0, s[20:21]
	s_wait_alu 0xfffe
	s_delay_alu instid0(SALU_CYCLE_1) | instskip(SKIP_1) | instid1(SALU_CYCLE_2)
	s_fmamk_f32 s2, s23, 0x4f800000, s2
	s_wait_alu 0xfffe
	v_s_rcp_f32 s2, s2
	s_delay_alu instid0(TRANS32_DEP_1) | instskip(SKIP_1) | instid1(SALU_CYCLE_2)
	s_mul_f32 s2, s2, 0x5f7ffffc
	s_wait_alu 0xfffe
	s_mul_f32 s23, s2, 0x2f800000
	s_wait_alu 0xfffe
	s_delay_alu instid0(SALU_CYCLE_2) | instskip(SKIP_1) | instid1(SALU_CYCLE_2)
	s_trunc_f32 s23, s23
	s_wait_alu 0xfffe
	s_fmamk_f32 s2, s23, 0xcf800000, s2
	s_cvt_u32_f32 s25, s23
	s_wait_alu 0xfffe
	s_delay_alu instid0(SALU_CYCLE_1) | instskip(SKIP_1) | instid1(SALU_CYCLE_2)
	s_cvt_u32_f32 s24, s2
	s_wait_alu 0xfffe
	s_mul_u64 s[28:29], s[26:27], s[24:25]
	s_wait_alu 0xfffe
	s_mul_hi_u32 s31, s24, s29
	s_mul_i32 s30, s24, s29
	s_mul_hi_u32 s2, s24, s28
	s_mul_i32 s33, s25, s28
	s_wait_alu 0xfffe
	s_add_nc_u64 s[30:31], s[2:3], s[30:31]
	s_mul_hi_u32 s23, s25, s28
	s_mul_hi_u32 s34, s25, s29
	s_add_co_u32 s2, s30, s33
	s_wait_alu 0xfffe
	s_add_co_ci_u32 s2, s31, s23
	s_mul_i32 s28, s25, s29
	s_add_co_ci_u32 s29, s34, 0
	s_wait_alu 0xfffe
	s_add_nc_u64 s[28:29], s[2:3], s[28:29]
	s_wait_alu 0xfffe
	v_add_co_u32 v2, s2, s24, s28
	s_delay_alu instid0(VALU_DEP_1) | instskip(SKIP_1) | instid1(VALU_DEP_1)
	s_cmp_lg_u32 s2, 0
	s_add_co_ci_u32 s25, s25, s29
	v_readfirstlane_b32 s24, v2
	s_wait_alu 0xfffe
	s_delay_alu instid0(VALU_DEP_1)
	s_mul_u64 s[26:27], s[26:27], s[24:25]
	s_wait_alu 0xfffe
	s_mul_hi_u32 s29, s24, s27
	s_mul_i32 s28, s24, s27
	s_mul_hi_u32 s2, s24, s26
	s_mul_i32 s30, s25, s26
	s_wait_alu 0xfffe
	s_add_nc_u64 s[28:29], s[2:3], s[28:29]
	s_mul_hi_u32 s23, s25, s26
	s_mul_hi_u32 s24, s25, s27
	s_wait_alu 0xfffe
	s_add_co_u32 s2, s28, s30
	s_add_co_ci_u32 s2, s29, s23
	s_mul_i32 s26, s25, s27
	s_add_co_ci_u32 s27, s24, 0
	s_wait_alu 0xfffe
	s_add_nc_u64 s[26:27], s[2:3], s[26:27]
	s_wait_alu 0xfffe
	v_add_co_u32 v2, s2, v2, s26
	s_delay_alu instid0(VALU_DEP_1) | instskip(SKIP_1) | instid1(VALU_DEP_1)
	s_cmp_lg_u32 s2, 0
	s_add_co_ci_u32 s2, s25, s27
	v_mul_hi_u32 v6, v7, v2
	s_wait_alu 0xfffe
	v_mad_co_u64_u32 v[9:10], null, v7, s2, 0
	v_mad_co_u64_u32 v[11:12], null, v8, v2, 0
	;; [unrolled: 1-line block ×3, first 2 shown]
	s_delay_alu instid0(VALU_DEP_3) | instskip(SKIP_1) | instid1(VALU_DEP_4)
	v_add_co_u32 v2, vcc_lo, v6, v9
	s_wait_alu 0xfffd
	v_add_co_ci_u32_e32 v6, vcc_lo, 0, v10, vcc_lo
	s_delay_alu instid0(VALU_DEP_2) | instskip(SKIP_1) | instid1(VALU_DEP_2)
	v_add_co_u32 v2, vcc_lo, v2, v11
	s_wait_alu 0xfffd
	v_add_co_ci_u32_e32 v2, vcc_lo, v6, v12, vcc_lo
	s_wait_alu 0xfffd
	v_add_co_ci_u32_e32 v6, vcc_lo, 0, v14, vcc_lo
	s_delay_alu instid0(VALU_DEP_2) | instskip(SKIP_1) | instid1(VALU_DEP_2)
	v_add_co_u32 v2, vcc_lo, v2, v13
	s_wait_alu 0xfffd
	v_add_co_ci_u32_e32 v6, vcc_lo, 0, v6, vcc_lo
	s_delay_alu instid0(VALU_DEP_2) | instskip(SKIP_1) | instid1(VALU_DEP_3)
	v_mul_lo_u32 v11, s21, v2
	v_mad_co_u64_u32 v[9:10], null, s20, v2, 0
	v_mul_lo_u32 v12, s20, v6
	s_delay_alu instid0(VALU_DEP_2) | instskip(NEXT) | instid1(VALU_DEP_2)
	v_sub_co_u32 v9, vcc_lo, v7, v9
	v_add3_u32 v10, v10, v12, v11
	s_delay_alu instid0(VALU_DEP_1) | instskip(SKIP_1) | instid1(VALU_DEP_1)
	v_sub_nc_u32_e32 v11, v8, v10
	s_wait_alu 0xfffd
	v_subrev_co_ci_u32_e64 v11, s2, s21, v11, vcc_lo
	v_add_co_u32 v12, s2, v2, 2
	s_wait_alu 0xf1ff
	v_add_co_ci_u32_e64 v13, s2, 0, v6, s2
	v_sub_co_u32 v14, s2, v9, s20
	v_sub_co_ci_u32_e32 v10, vcc_lo, v8, v10, vcc_lo
	s_wait_alu 0xf1ff
	v_subrev_co_ci_u32_e64 v11, s2, 0, v11, s2
	s_delay_alu instid0(VALU_DEP_3) | instskip(NEXT) | instid1(VALU_DEP_3)
	v_cmp_le_u32_e32 vcc_lo, s20, v14
	v_cmp_eq_u32_e64 s2, s21, v10
	s_wait_alu 0xfffd
	v_cndmask_b32_e64 v14, 0, -1, vcc_lo
	v_cmp_le_u32_e32 vcc_lo, s21, v11
	s_wait_alu 0xfffd
	v_cndmask_b32_e64 v15, 0, -1, vcc_lo
	v_cmp_le_u32_e32 vcc_lo, s20, v9
	;; [unrolled: 3-line block ×3, first 2 shown]
	s_wait_alu 0xfffd
	v_cndmask_b32_e64 v16, 0, -1, vcc_lo
	v_cmp_eq_u32_e32 vcc_lo, s21, v11
	s_wait_alu 0xf1ff
	s_delay_alu instid0(VALU_DEP_2)
	v_cndmask_b32_e64 v9, v16, v9, s2
	s_wait_alu 0xfffd
	v_cndmask_b32_e32 v11, v15, v14, vcc_lo
	v_add_co_u32 v14, vcc_lo, v2, 1
	s_wait_alu 0xfffd
	v_add_co_ci_u32_e32 v15, vcc_lo, 0, v6, vcc_lo
	s_delay_alu instid0(VALU_DEP_3) | instskip(SKIP_1) | instid1(VALU_DEP_2)
	v_cmp_ne_u32_e32 vcc_lo, 0, v11
	s_wait_alu 0xfffd
	v_dual_cndmask_b32 v10, v15, v13 :: v_dual_cndmask_b32 v11, v14, v12
	v_cmp_ne_u32_e32 vcc_lo, 0, v9
	s_wait_alu 0xfffd
	s_delay_alu instid0(VALU_DEP_2) | instskip(NEXT) | instid1(VALU_DEP_3)
	v_cndmask_b32_e32 v10, v6, v10, vcc_lo
	v_cndmask_b32_e32 v9, v2, v11, vcc_lo
.LBB0_4:                                ;   in Loop: Header=BB0_2 Depth=1
	s_wait_alu 0xfffe
	s_and_not1_saveexec_b32 s2, s22
	s_cbranch_execz .LBB0_6
; %bb.5:                                ;   in Loop: Header=BB0_2 Depth=1
	v_cvt_f32_u32_e32 v2, s20
	s_sub_co_i32 s22, 0, s20
	s_delay_alu instid0(VALU_DEP_1) | instskip(NEXT) | instid1(TRANS32_DEP_1)
	v_rcp_iflag_f32_e32 v2, v2
	v_mul_f32_e32 v2, 0x4f7ffffe, v2
	s_delay_alu instid0(VALU_DEP_1) | instskip(SKIP_1) | instid1(VALU_DEP_1)
	v_cvt_u32_f32_e32 v2, v2
	s_wait_alu 0xfffe
	v_mul_lo_u32 v6, s22, v2
	s_delay_alu instid0(VALU_DEP_1) | instskip(NEXT) | instid1(VALU_DEP_1)
	v_mul_hi_u32 v6, v2, v6
	v_add_nc_u32_e32 v2, v2, v6
	s_delay_alu instid0(VALU_DEP_1) | instskip(NEXT) | instid1(VALU_DEP_1)
	v_mul_hi_u32 v2, v7, v2
	v_mul_lo_u32 v6, v2, s20
	v_add_nc_u32_e32 v9, 1, v2
	s_delay_alu instid0(VALU_DEP_2) | instskip(NEXT) | instid1(VALU_DEP_1)
	v_sub_nc_u32_e32 v6, v7, v6
	v_subrev_nc_u32_e32 v10, s20, v6
	v_cmp_le_u32_e32 vcc_lo, s20, v6
	s_wait_alu 0xfffd
	s_delay_alu instid0(VALU_DEP_2) | instskip(SKIP_2) | instid1(VALU_DEP_3)
	v_cndmask_b32_e32 v6, v6, v10, vcc_lo
	v_mov_b32_e32 v10, v5
	v_cndmask_b32_e32 v2, v2, v9, vcc_lo
	v_cmp_le_u32_e32 vcc_lo, s20, v6
	s_delay_alu instid0(VALU_DEP_2) | instskip(SKIP_1) | instid1(VALU_DEP_1)
	v_add_nc_u32_e32 v9, 1, v2
	s_wait_alu 0xfffd
	v_cndmask_b32_e32 v9, v2, v9, vcc_lo
.LBB0_6:                                ;   in Loop: Header=BB0_2 Depth=1
	s_wait_alu 0xfffe
	s_or_b32 exec_lo, exec_lo, s2
	s_load_b64 s[22:23], s[14:15], 0x0
	v_mul_lo_u32 v2, v10, s20
	v_mul_lo_u32 v6, v9, s21
	v_mad_co_u64_u32 v[11:12], null, v9, s20, 0
	s_add_nc_u64 s[16:17], s[16:17], 1
	s_add_nc_u64 s[14:15], s[14:15], 8
	s_wait_alu 0xfffe
	v_cmp_ge_u64_e64 s2, s[16:17], s[6:7]
	s_add_nc_u64 s[18:19], s[18:19], 8
	s_delay_alu instid0(VALU_DEP_2) | instskip(NEXT) | instid1(VALU_DEP_3)
	v_add3_u32 v2, v12, v6, v2
	v_sub_co_u32 v6, vcc_lo, v7, v11
	s_wait_alu 0xfffd
	s_delay_alu instid0(VALU_DEP_2) | instskip(SKIP_3) | instid1(VALU_DEP_2)
	v_sub_co_ci_u32_e32 v2, vcc_lo, v8, v2, vcc_lo
	s_and_b32 vcc_lo, exec_lo, s2
	s_wait_kmcnt 0x0
	v_mul_lo_u32 v7, s23, v6
	v_mul_lo_u32 v2, s22, v2
	v_mad_co_u64_u32 v[3:4], null, s22, v6, v[3:4]
	s_delay_alu instid0(VALU_DEP_1)
	v_add3_u32 v4, v7, v4, v2
	s_wait_alu 0xfffe
	s_cbranch_vccnz .LBB0_8
; %bb.7:                                ;   in Loop: Header=BB0_2 Depth=1
	v_dual_mov_b32 v7, v9 :: v_dual_mov_b32 v8, v10
	s_branch .LBB0_2
.LBB0_8:
	s_lshl_b64 s[2:3], s[6:7], 3
	v_mul_hi_u32 v2, 0xba2e8bb, v0
	s_wait_alu 0xfffe
	s_add_nc_u64 s[2:3], s[12:13], s[2:3]
	s_load_b64 s[0:1], s[0:1], 0x20
	s_load_b64 s[2:3], s[2:3], 0x0
	s_delay_alu instid0(VALU_DEP_1) | instskip(NEXT) | instid1(VALU_DEP_1)
	v_mul_u32_u24_e32 v2, 22, v2
	v_sub_nc_u32_e32 v48, v0, v2
	s_delay_alu instid0(VALU_DEP_1)
	v_add_nc_u32_e32 v22, 22, v48
	v_add_nc_u32_e32 v24, 44, v48
	;; [unrolled: 1-line block ×4, first 2 shown]
	s_wait_kmcnt 0x0
	v_cmp_gt_u64_e32 vcc_lo, s[0:1], v[9:10]
	v_mul_lo_u32 v5, s2, v10
	v_mul_lo_u32 v6, s3, v9
	v_mad_co_u64_u32 v[2:3], null, s2, v9, v[3:4]
	v_cmp_le_u64_e64 s0, s[0:1], v[9:10]
	s_delay_alu instid0(VALU_DEP_2) | instskip(NEXT) | instid1(VALU_DEP_2)
	v_add3_u32 v3, v6, v3, v5
	s_and_saveexec_b32 s1, s0
	s_wait_alu 0xfffe
	s_xor_b32 s0, exec_lo, s1
; %bb.9:
	v_add_nc_u32_e32 v22, 22, v48
	v_add_nc_u32_e32 v24, 44, v48
	;; [unrolled: 1-line block ×4, first 2 shown]
; %bb.10:
	s_wait_alu 0xfffe
	s_or_saveexec_b32 s1, s0
	v_lshlrev_b64_e32 v[40:41], 3, v[2:3]
                                        ; implicit-def: $vgpr3
                                        ; implicit-def: $vgpr5
                                        ; implicit-def: $vgpr15
                                        ; implicit-def: $vgpr7
                                        ; implicit-def: $vgpr17
                                        ; implicit-def: $vgpr13
                                        ; implicit-def: $vgpr9
                                        ; implicit-def: $vgpr21
                                        ; implicit-def: $vgpr11
                                        ; implicit-def: $vgpr19
	s_wait_alu 0xfffe
	s_xor_b32 exec_lo, exec_lo, s1
	s_cbranch_execz .LBB0_12
; %bb.11:
	v_mad_co_u64_u32 v[2:3], null, s8, v48, 0
	v_mad_co_u64_u32 v[4:5], null, s8, v22, 0
	;; [unrolled: 1-line block ×4, first 2 shown]
	v_add_co_u32 v31, s0, s10, v40
	s_delay_alu instid0(VALU_DEP_4) | instskip(NEXT) | instid1(VALU_DEP_4)
	v_mad_co_u64_u32 v[10:11], null, s9, v48, v[3:4]
	v_mad_co_u64_u32 v[11:12], null, s9, v22, v[5:6]
	s_delay_alu instid0(VALU_DEP_4) | instskip(SKIP_1) | instid1(VALU_DEP_4)
	v_mad_co_u64_u32 v[12:13], null, s9, v24, v[7:8]
	v_add_nc_u32_e32 v14, 0x6e, v48
	v_dual_mov_b32 v3, v10 :: v_dual_add_nc_u32 v20, 0x84, v48
	v_mad_co_u64_u32 v[9:10], null, s9, v0, v[9:10]
	v_mov_b32_e32 v5, v11
	v_mad_co_u64_u32 v[10:11], null, s8, v23, 0
	s_delay_alu instid0(VALU_DEP_4)
	v_lshlrev_b64_e32 v[2:3], 3, v[2:3]
	v_mad_co_u64_u32 v[16:17], null, s8, v20, 0
	v_mov_b32_e32 v7, v12
	s_wait_alu 0xf1ff
	v_add_co_ci_u32_e64 v32, s0, s11, v41, s0
	v_lshlrev_b64_e32 v[4:5], 3, v[4:5]
	v_add_co_u32 v2, s0, v31, v2
	v_lshlrev_b64_e32 v[6:7], 3, v[6:7]
	s_wait_alu 0xf1ff
	v_add_co_ci_u32_e64 v3, s0, v32, v3, s0
	s_delay_alu instid0(VALU_DEP_4)
	v_add_co_u32 v4, s0, v31, v4
	v_lshlrev_b64_e32 v[8:9], 3, v[8:9]
	v_mad_co_u64_u32 v[11:12], null, s9, v23, v[11:12]
	v_mad_co_u64_u32 v[12:13], null, s8, v14, 0
	s_wait_alu 0xf1ff
	v_add_co_ci_u32_e64 v5, s0, v32, v5, s0
	v_add_co_u32 v6, s0, v31, v6
	s_wait_alu 0xf1ff
	v_add_co_ci_u32_e64 v7, s0, v32, v7, s0
	v_add_co_u32 v8, s0, v31, v8
	s_wait_alu 0xf1ff
	v_add_co_ci_u32_e64 v9, s0, v32, v9, s0
	v_mad_co_u64_u32 v[13:14], null, s9, v14, v[13:14]
	s_clause 0x3
	global_load_b64 v[2:3], v[2:3], off
	global_load_b64 v[4:5], v[4:5], off
	;; [unrolled: 1-line block ×4, first 2 shown]
	v_mov_b32_e32 v8, v17
	v_lshlrev_b64_e32 v[9:10], 3, v[10:11]
	v_add_nc_u32_e32 v27, 0x9a, v48
	v_lshlrev_b64_e32 v[11:12], 3, v[12:13]
	s_delay_alu instid0(VALU_DEP_3) | instskip(NEXT) | instid1(VALU_DEP_3)
	v_mad_co_u64_u32 v[20:21], null, s9, v20, v[8:9]
	v_mad_co_u64_u32 v[18:19], null, s8, v27, 0
	s_delay_alu instid0(VALU_DEP_2) | instskip(NEXT) | instid1(VALU_DEP_1)
	v_dual_mov_b32 v17, v20 :: v_dual_add_nc_u32 v30, 0xb0, v48
	v_mad_co_u64_u32 v[25:26], null, s8, v30, 0
	s_delay_alu instid0(VALU_DEP_3) | instskip(NEXT) | instid1(VALU_DEP_3)
	v_dual_mov_b32 v8, v19 :: v_dual_add_nc_u32 v33, 0xc6, v48
	v_lshlrev_b64_e32 v[16:17], 3, v[16:17]
	s_delay_alu instid0(VALU_DEP_2)
	v_mad_co_u64_u32 v[27:28], null, s9, v27, v[8:9]
	v_add_co_u32 v8, s0, v31, v9
	s_wait_alu 0xf1ff
	v_add_co_ci_u32_e64 v9, s0, v32, v10, s0
	v_mov_b32_e32 v10, v26
	v_mad_co_u64_u32 v[28:29], null, s8, v33, 0
	v_mov_b32_e32 v19, v27
	s_delay_alu instid0(VALU_DEP_3) | instskip(SKIP_1) | instid1(VALU_DEP_4)
	v_mad_co_u64_u32 v[20:21], null, s9, v30, v[10:11]
	v_add_co_u32 v11, s0, v31, v11
	v_mov_b32_e32 v10, v29
	s_delay_alu instid0(VALU_DEP_4)
	v_lshlrev_b64_e32 v[18:19], 3, v[18:19]
	s_wait_alu 0xf1ff
	v_add_co_ci_u32_e64 v12, s0, v32, v12, s0
	v_mov_b32_e32 v26, v20
	v_mad_co_u64_u32 v[29:30], null, s9, v33, v[10:11]
	v_add_co_u32 v20, s0, v31, v16
	s_wait_alu 0xf1ff
	v_add_co_ci_u32_e64 v21, s0, v32, v17, s0
	v_lshlrev_b64_e32 v[16:17], 3, v[25:26]
	v_add_co_u32 v25, s0, v31, v18
	s_wait_alu 0xf1ff
	v_add_co_ci_u32_e64 v26, s0, v32, v19, s0
	v_lshlrev_b64_e32 v[18:19], 3, v[28:29]
	s_delay_alu instid0(VALU_DEP_4) | instskip(SKIP_2) | instid1(VALU_DEP_3)
	v_add_co_u32 v27, s0, v31, v16
	s_wait_alu 0xf1ff
	v_add_co_ci_u32_e64 v28, s0, v32, v17, s0
	v_add_co_u32 v29, s0, v31, v18
	s_wait_alu 0xf1ff
	v_add_co_ci_u32_e64 v30, s0, v32, v19, s0
	s_clause 0x5
	global_load_b64 v[16:17], v[8:9], off
	global_load_b64 v[12:13], v[11:12], off
	;; [unrolled: 1-line block ×6, first 2 shown]
.LBB0_12:
	s_or_b32 exec_lo, exec_lo, s1
	v_mul_hi_u32 v25, 0xcccccccd, v1
	s_wait_loadcnt 0x1
	v_dual_add_f32 v27, v16, v18 :: v_dual_sub_f32 v28, v15, v21
	v_dual_sub_f32 v30, v14, v16 :: v_dual_sub_f32 v31, v20, v18
	v_dual_add_f32 v32, v14, v20 :: v_dual_sub_f32 v33, v16, v14
	s_delay_alu instid0(VALU_DEP_3) | instskip(SKIP_3) | instid1(VALU_DEP_4)
	v_fma_f32 v27, -0.5, v27, v2
	v_lshrrev_b32_e32 v25, 2, v25
	v_dual_add_f32 v26, v2, v14 :: v_dual_sub_f32 v29, v17, v19
	v_add_f32_e32 v30, v30, v31
	v_dual_fmamk_f32 v34, v28, 0xbf737871, v27 :: v_dual_sub_f32 v31, v18, v20
	s_delay_alu instid0(VALU_DEP_4)
	v_lshl_add_u32 v25, v25, 2, v25
	v_fmac_f32_e32 v27, 0x3f737871, v28
	v_fmac_f32_e32 v2, -0.5, v32
	v_cmp_gt_u32_e64 s0, 20, v48
	v_add_f32_e32 v35, v17, v19
	v_sub_nc_u32_e32 v1, v1, v25
	v_dual_fmac_f32 v27, 0x3f167918, v29 :: v_dual_add_f32 v26, v26, v16
	v_fmamk_f32 v25, v29, 0x3f737871, v2
	v_fmac_f32_e32 v34, 0xbf167918, v29
	s_delay_alu instid0(VALU_DEP_3) | instskip(NEXT) | instid1(VALU_DEP_3)
	v_dual_add_f32 v32, v3, v15 :: v_dual_fmac_f32 v27, 0x3e9e377a, v30
	v_dual_add_f32 v26, v26, v18 :: v_dual_fmac_f32 v25, 0xbf167918, v28
	s_delay_alu instid0(VALU_DEP_3) | instskip(SKIP_1) | instid1(VALU_DEP_4)
	v_fmac_f32_e32 v34, 0x3e9e377a, v30
	v_fmac_f32_e32 v2, 0xbf737871, v29
	v_add_f32_e32 v29, v32, v17
	s_delay_alu instid0(VALU_DEP_4) | instskip(SKIP_2) | instid1(VALU_DEP_4)
	v_dual_add_f32 v26, v20, v26 :: v_dual_add_f32 v31, v33, v31
	v_fma_f32 v32, -0.5, v35, v3
	v_sub_f32_e32 v14, v14, v20
	v_dual_add_f32 v20, v29, v19 :: v_dual_add_f32 v29, v15, v21
	s_delay_alu instid0(VALU_DEP_4) | instskip(SKIP_1) | instid1(VALU_DEP_3)
	v_dual_fmac_f32 v25, 0x3e9e377a, v31 :: v_dual_sub_f32 v16, v16, v18
	v_dual_sub_f32 v18, v15, v17 :: v_dual_sub_f32 v15, v17, v15
	v_fmac_f32_e32 v3, -0.5, v29
	s_delay_alu instid0(VALU_DEP_4) | instskip(SKIP_4) | instid1(VALU_DEP_4)
	v_add_f32_e32 v29, v21, v20
	v_fmac_f32_e32 v2, 0x3f167918, v28
	v_dual_fmamk_f32 v28, v14, 0x3f737871, v32 :: v_dual_sub_f32 v17, v19, v21
	v_sub_f32_e32 v30, v21, v19
	v_fmac_f32_e32 v32, 0xbf737871, v14
	v_dual_add_f32 v19, v4, v6 :: v_dual_fmac_f32 v2, 0x3e9e377a, v31
	s_delay_alu instid0(VALU_DEP_4) | instskip(NEXT) | instid1(VALU_DEP_4)
	v_dual_fmac_f32 v28, 0x3f167918, v16 :: v_dual_add_f32 v15, v15, v17
	v_add_f32_e32 v18, v18, v30
	v_fmamk_f32 v30, v16, 0xbf737871, v3
	v_fmac_f32_e32 v3, 0x3f737871, v16
	v_fmac_f32_e32 v32, 0xbf167918, v16
	v_dual_add_f32 v16, v19, v12 :: v_dual_add_f32 v17, v12, v10
	s_delay_alu instid0(VALU_DEP_4) | instskip(NEXT) | instid1(VALU_DEP_4)
	v_fmac_f32_e32 v30, 0x3f167918, v14
	v_fmac_f32_e32 v3, 0xbf167918, v14
	s_wait_loadcnt 0x0
	v_sub_f32_e32 v20, v8, v10
	v_add_f32_e32 v14, v16, v10
	v_fma_f32 v16, -0.5, v17, v4
	v_dual_add_f32 v17, v6, v8 :: v_dual_fmac_f32 v32, 0x3e9e377a, v18
	v_sub_f32_e32 v33, v10, v8
	v_fmac_f32_e32 v3, 0x3e9e377a, v15
	s_delay_alu instid0(VALU_DEP_3) | instskip(SKIP_3) | instid1(VALU_DEP_3)
	v_dual_sub_f32 v31, v12, v6 :: v_dual_fmac_f32 v4, -0.5, v17
	v_dual_sub_f32 v17, v6, v12 :: v_dual_fmac_f32 v30, 0x3e9e377a, v15
	v_sub_f32_e32 v10, v12, v10
	v_sub_f32_e32 v6, v6, v8
	v_dual_sub_f32 v12, v7, v13 :: v_dual_add_f32 v17, v17, v20
	v_add_f32_e32 v19, v8, v14
	v_fmac_f32_e32 v28, 0x3e9e377a, v18
	v_sub_f32_e32 v14, v13, v11
	v_sub_f32_e32 v18, v7, v9
	v_add_f32_e32 v20, v31, v33
	v_dual_add_f32 v8, v5, v7 :: v_dual_sub_f32 v31, v11, v9
	s_delay_alu instid0(VALU_DEP_4) | instskip(NEXT) | instid1(VALU_DEP_4)
	v_fmamk_f32 v21, v14, 0x3f737871, v4
	v_fmamk_f32 v15, v18, 0xbf737871, v16
	v_mul_u32_u24_e32 v1, 0xdc, v1
	s_delay_alu instid0(VALU_DEP_2) | instskip(SKIP_1) | instid1(VALU_DEP_3)
	v_fmac_f32_e32 v15, 0xbf167918, v14
	v_fmac_f32_e32 v16, 0x3f737871, v18
	v_dual_fmac_f32 v21, 0xbf167918, v18 :: v_dual_lshlrev_b32 v44, 3, v1
	v_sub_f32_e32 v1, v26, v19
	s_delay_alu instid0(VALU_DEP_4) | instskip(NEXT) | instid1(VALU_DEP_4)
	v_fmac_f32_e32 v15, 0x3e9e377a, v17
	v_fmac_f32_e32 v16, 0x3f167918, v14
	s_delay_alu instid0(VALU_DEP_4) | instskip(SKIP_2) | instid1(VALU_DEP_4)
	v_fmac_f32_e32 v21, 0x3e9e377a, v20
	v_fmac_f32_e32 v4, 0xbf737871, v14
	v_add_f32_e32 v14, v13, v11
	v_fmac_f32_e32 v16, 0x3e9e377a, v17
	v_add_f32_e32 v17, v7, v9
	s_delay_alu instid0(VALU_DEP_4) | instskip(NEXT) | instid1(VALU_DEP_4)
	v_dual_sub_f32 v7, v13, v7 :: v_dual_fmac_f32 v4, 0x3f167918, v18
	v_fma_f32 v18, -0.5, v14, v5
	s_delay_alu instid0(VALU_DEP_3) | instskip(NEXT) | instid1(VALU_DEP_3)
	v_dual_sub_f32 v14, v9, v11 :: v_dual_fmac_f32 v5, -0.5, v17
	v_add_f32_e32 v7, v7, v31
	s_delay_alu instid0(VALU_DEP_2) | instskip(SKIP_1) | instid1(VALU_DEP_2)
	v_dual_fmamk_f32 v17, v6, 0x3f737871, v18 :: v_dual_add_f32 v12, v12, v14
	v_fmac_f32_e32 v4, 0x3e9e377a, v20
	v_fmac_f32_e32 v17, 0x3f167918, v10
	s_delay_alu instid0(VALU_DEP_1) | instskip(SKIP_2) | instid1(VALU_DEP_3)
	v_fmac_f32_e32 v17, 0x3e9e377a, v12
	v_fmamk_f32 v20, v10, 0xbf737871, v5
	v_fmac_f32_e32 v5, 0x3f737871, v10
	v_mul_f32_e32 v31, 0xbf167918, v17
	s_delay_alu instid0(VALU_DEP_2) | instskip(NEXT) | instid1(VALU_DEP_2)
	v_fmac_f32_e32 v5, 0xbf167918, v6
	v_fmac_f32_e32 v31, 0x3f4f1bbd, v15
	s_delay_alu instid0(VALU_DEP_2) | instskip(NEXT) | instid1(VALU_DEP_1)
	v_fmac_f32_e32 v5, 0x3e9e377a, v7
	v_mul_f32_e32 v35, 0xbf737871, v5
	v_fmac_f32_e32 v20, 0x3f167918, v6
	s_delay_alu instid0(VALU_DEP_2) | instskip(NEXT) | instid1(VALU_DEP_2)
	v_dual_mul_f32 v42, 0xbe9e377a, v5 :: v_dual_fmac_f32 v35, 0xbe9e377a, v4
	v_fmac_f32_e32 v20, 0x3e9e377a, v7
	s_delay_alu instid0(VALU_DEP_2) | instskip(SKIP_1) | instid1(VALU_DEP_3)
	v_fmac_f32_e32 v42, 0x3f737871, v4
	v_mul_f32_e32 v38, 0x3f167918, v15
	v_dual_sub_f32 v4, v34, v31 :: v_dual_mul_f32 v33, 0xbf737871, v20
	s_delay_alu instid0(VALU_DEP_1) | instskip(SKIP_2) | instid1(VALU_DEP_2)
	v_fmac_f32_e32 v33, 0x3e9e377a, v21
	v_mul_f32_e32 v39, 0x3e9e377a, v20
	v_mul_u32_u24_e32 v20, 10, v48
	v_fmac_f32_e32 v39, 0x3f737871, v21
	v_fmac_f32_e32 v18, 0xbf737871, v6
	v_add_f32_e32 v6, v8, v13
	v_dual_fmac_f32 v38, 0x3f4f1bbd, v17 :: v_dual_add_f32 v13, v3, v42
	s_delay_alu instid0(VALU_DEP_4) | instskip(NEXT) | instid1(VALU_DEP_3)
	v_sub_f32_e32 v17, v30, v39
	v_add_f32_e32 v6, v6, v11
	v_dual_add_f32 v11, v30, v39 :: v_dual_fmac_f32 v18, 0xbf167918, v10
	s_delay_alu instid0(VALU_DEP_4) | instskip(NEXT) | instid1(VALU_DEP_2)
	v_dual_sub_f32 v5, v28, v38 :: v_dual_add_f32 v10, v25, v33
	v_fmac_f32_e32 v18, 0x3e9e377a, v12
	s_delay_alu instid0(VALU_DEP_1) | instskip(SKIP_3) | instid1(VALU_DEP_4)
	v_mul_f32_e32 v37, 0xbf167918, v18
	v_add_f32_e32 v36, v9, v6
	v_dual_add_f32 v9, v28, v38 :: v_dual_add_f32 v8, v34, v31
	v_dual_mul_f32 v43, 0xbf4f1bbd, v18 :: v_dual_add_nc_u32 v34, 0, v44
	v_dual_add_f32 v6, v19, v26 :: v_dual_fmac_f32 v37, 0xbf4f1bbd, v16
	s_delay_alu instid0(VALU_DEP_4) | instskip(NEXT) | instid1(VALU_DEP_3)
	v_add_f32_e32 v7, v36, v29
	v_fmac_f32_e32 v43, 0x3f167918, v16
	s_delay_alu instid0(VALU_DEP_4)
	v_lshl_add_u32 v21, v20, 3, v34
	v_add_f32_e32 v12, v2, v35
	v_add_f32_e32 v14, v27, v37
	v_sub_f32_e32 v18, v2, v35
	v_dual_add_f32 v15, v32, v43 :: v_dual_sub_f32 v2, v29, v36
	v_sub_f32_e32 v16, v25, v33
	v_sub_f32_e32 v25, v27, v37
	;; [unrolled: 1-line block ×3, first 2 shown]
	v_dual_sub_f32 v26, v32, v43 :: v_dual_and_b32 v3, 0xff, v24
	ds_store_2addr_b64 v21, v[6:7], v[8:9] offset1:1
	ds_store_2addr_b64 v21, v[10:11], v[12:13] offset0:2 offset1:3
	ds_store_2addr_b64 v21, v[14:15], v[1:2] offset0:4 offset1:5
	;; [unrolled: 1-line block ×4, first 2 shown]
	v_and_b32_e32 v1, 0xff, v48
	v_and_b32_e32 v2, 0xff, v22
	;; [unrolled: 1-line block ×4, first 2 shown]
	global_wb scope:SCOPE_SE
	s_wait_dscnt 0x0
	v_mul_lo_u16 v1, 0xcd, v1
	v_mul_lo_u16 v2, 0xcd, v2
	v_mul_lo_u16 v4, 0xcd, v4
	v_mul_lo_u16 v5, 0xcd, v5
	s_barrier_signal -1
	v_lshrrev_b16 v1, 11, v1
	v_lshrrev_b16 v2, 11, v2
	;; [unrolled: 1-line block ×4, first 2 shown]
	s_barrier_wait -1
	v_mul_lo_u16 v6, v1, 10
	v_mul_lo_u16 v7, v2, 10
	;; [unrolled: 1-line block ×4, first 2 shown]
	global_inv scope:SCOPE_SE
	v_sub_nc_u16 v6, v48, v6
	v_sub_nc_u16 v7, v22, v7
	;; [unrolled: 1-line block ×4, first 2 shown]
	v_mul_lo_u16 v3, 0xcd, v3
	v_and_b32_e32 v6, 0xff, v6
	v_and_b32_e32 v2, 0xffff, v2
	;; [unrolled: 1-line block ×4, first 2 shown]
	v_lshrrev_b16 v3, 11, v3
	v_lshlrev_b32_e32 v6, 3, v6
	v_and_b32_e32 v4, 0xffff, v4
	v_lshlrev_b32_e32 v33, 3, v11
	v_lshlrev_b32_e32 v35, 3, v13
	v_mul_lo_u16 v8, v3, 10
	global_load_b64 v[9:10], v6, s[4:5]
	v_and_b32_e32 v7, 0xff, v7
	v_mad_i32_i24 v18, 0xffffffb8, v48, v21
	v_mad_u32_u24 v37, 0xa0, v4, 0
	v_sub_nc_u16 v8, v24, v8
	s_delay_alu instid0(VALU_DEP_4) | instskip(NEXT) | instid1(VALU_DEP_2)
	v_lshlrev_b32_e32 v7, 3, v7
	v_and_b32_e32 v8, 0xff, v8
	global_load_b64 v[11:12], v7, s[4:5]
	v_lshlrev_b32_e32 v17, 3, v8
	s_clause 0x2
	global_load_b64 v[13:14], v17, s[4:5]
	global_load_b64 v[15:16], v33, s[4:5]
	;; [unrolled: 1-line block ×3, first 2 shown]
	v_and_b32_e32 v1, 0xffff, v1
	v_and_b32_e32 v3, 0xffff, v3
	v_mad_u32_u24 v8, 0xa0, v2, 0
	v_and_b32_e32 v5, 0xffff, v5
	s_delay_alu instid0(VALU_DEP_4) | instskip(NEXT) | instid1(VALU_DEP_4)
	v_mad_u32_u24 v1, 0xa0, v1, 0
	v_mad_u32_u24 v36, 0xa0, v3, 0
	s_delay_alu instid0(VALU_DEP_4) | instskip(NEXT) | instid1(VALU_DEP_4)
	v_add3_u32 v45, v8, v7, v44
	v_mad_u32_u24 v38, 0xa0, v5, 0
	s_delay_alu instid0(VALU_DEP_4)
	v_add3_u32 v39, v1, v6, v44
	ds_load_2addr_b64 v[1:4], v18 offset0:110 offset1:132
	v_add3_u32 v36, v36, v17, v44
	s_wait_loadcnt_dscnt 0x300
	v_mul_f32_e32 v17, v12, v4
	v_mul_f32_e32 v12, v12, v3
	s_delay_alu instid0(VALU_DEP_2)
	v_fmac_f32_e32 v17, v11, v3
	v_lshl_add_u32 v19, v48, 3, v34
	v_lshl_add_u32 v24, v24, 3, v34
	;; [unrolled: 1-line block ×3, first 2 shown]
	ds_load_2addr_b64 v[5:8], v18 offset0:154 offset1:176
	ds_load_b64 v[21:22], v19
	ds_load_b64 v[27:28], v24
	;; [unrolled: 1-line block ×3, first 2 shown]
	ds_load_b64 v[31:32], v18 offset:1584
	v_lshl_add_u32 v0, v0, 3, v34
	v_lshl_add_u32 v34, v23, 3, v34
	s_wait_loadcnt_dscnt 0x104
	v_mul_f32_e32 v42, v16, v8
	v_add3_u32 v35, v38, v35, v44
	v_mul_f32_e32 v38, v14, v6
	v_add3_u32 v37, v37, v33, v44
	ds_load_b64 v[23:24], v0
	ds_load_b64 v[33:34], v34
	v_mul_f32_e32 v0, v10, v2
	v_mul_f32_e32 v10, v10, v1
	;; [unrolled: 1-line block ×3, first 2 shown]
	s_wait_loadcnt_dscnt 0x2
	v_dual_mul_f32 v16, v16, v7 :: v_dual_mul_f32 v43, v26, v32
	v_mul_f32_e32 v26, v26, v31
	v_fmac_f32_e32 v38, v13, v5
	v_fma_f32 v3, v13, v6, -v14
	v_fmac_f32_e32 v42, v15, v7
	v_fma_f32 v6, v15, v8, -v16
	;; [unrolled: 2-line block ×3, first 2 shown]
	v_fma_f32 v2, v11, v4, -v12
	v_fmac_f32_e32 v43, v25, v31
	v_fma_f32 v7, v25, v32, -v26
	s_delay_alu instid0(VALU_DEP_4) | instskip(NEXT) | instid1(VALU_DEP_4)
	v_dual_sub_f32 v8, v27, v38 :: v_dual_sub_f32 v5, v22, v1
	v_sub_f32_e32 v1, v30, v2
	s_wait_dscnt 0x1
	v_dual_sub_f32 v13, v24, v6 :: v_dual_sub_f32 v4, v21, v0
	v_dual_sub_f32 v0, v29, v17 :: v_dual_sub_f32 v9, v28, v3
	v_sub_f32_e32 v12, v23, v42
	s_wait_dscnt 0x0
	v_sub_f32_e32 v16, v33, v43
	v_sub_f32_e32 v17, v34, v7
	v_fma_f32 v42, v21, 2.0, -v4
	v_fma_f32 v43, v22, 2.0, -v5
	;; [unrolled: 1-line block ×10, first 2 shown]
	global_wb scope:SCOPE_SE
	s_barrier_signal -1
	s_barrier_wait -1
	global_inv scope:SCOPE_SE
	ds_store_2addr_b64 v39, v[42:43], v[4:5] offset1:10
	ds_store_2addr_b64 v45, v[6:7], v[0:1] offset1:10
	;; [unrolled: 1-line block ×5, first 2 shown]
	global_wb scope:SCOPE_SE
	s_wait_dscnt 0x0
	s_barrier_signal -1
	s_barrier_wait -1
	global_inv scope:SCOPE_SE
	s_and_saveexec_b32 s1, s0
	s_cbranch_execnz .LBB0_15
; %bb.13:
	s_wait_alu 0xfffe
	s_or_b32 exec_lo, exec_lo, s1
	s_and_b32 s0, vcc_lo, s0
	s_wait_alu 0xfffe
	s_and_saveexec_b32 s1, s0
	s_cbranch_execnz .LBB0_16
.LBB0_14:
	s_endpgm
.LBB0_15:
	ds_load_b64 v[42:43], v19
	ds_load_2addr_b64 v[4:7], v18 offset0:20 offset1:40
	ds_load_2addr_b64 v[0:3], v18 offset0:60 offset1:80
	;; [unrolled: 1-line block ×5, first 2 shown]
	s_wait_alu 0xfffe
	s_or_b32 exec_lo, exec_lo, s1
	s_and_b32 s0, vcc_lo, s0
	s_wait_alu 0xfffe
	s_and_saveexec_b32 s1, s0
	s_cbranch_execz .LBB0_14
.LBB0_16:
	v_mad_co_u64_u32 v[46:47], null, s8, v48, 0
	v_add_nc_u32_e32 v57, 20, v48
	v_add_co_u32 v49, vcc_lo, s10, v40
	s_wait_alu 0xfffd
	v_add_co_ci_u32_e32 v50, vcc_lo, s11, v41, vcc_lo
	s_delay_alu instid0(VALU_DEP_3) | instskip(SKIP_1) | instid1(VALU_DEP_1)
	v_mad_co_u64_u32 v[51:52], null, s8, v57, 0
	v_mad_co_u64_u32 v[55:56], null, s9, v48, v[47:48]
	v_dual_mov_b32 v47, v55 :: v_dual_lshlrev_b32 v20, 3, v20
	s_clause 0x4
	global_load_b128 v[28:31], v20, s[4:5] offset:144
	global_load_b128 v[36:39], v20, s[4:5] offset:80
	;; [unrolled: 1-line block ×5, first 2 shown]
	v_add_nc_u32_e32 v58, 40, v48
	v_add_nc_u32_e32 v60, 0x50, v48
	;; [unrolled: 1-line block ×3, first 2 shown]
	v_lshlrev_b64_e32 v[46:47], 3, v[46:47]
	s_delay_alu instid0(VALU_DEP_4) | instskip(NEXT) | instid1(VALU_DEP_4)
	v_mad_co_u64_u32 v[53:54], null, s8, v58, 0
	v_mad_co_u64_u32 v[44:45], null, s8, v60, 0
	s_delay_alu instid0(VALU_DEP_2) | instskip(NEXT) | instid1(VALU_DEP_3)
	v_mad_co_u64_u32 v[56:57], null, s9, v57, v[52:53]
	v_mad_co_u64_u32 v[57:58], null, s9, v58, v[54:55]
	s_delay_alu instid0(VALU_DEP_2) | instskip(NEXT) | instid1(VALU_DEP_4)
	v_dual_mov_b32 v52, v56 :: v_dual_add_nc_u32 v59, 60, v48
	v_mad_co_u64_u32 v[55:56], null, s9, v60, v[45:46]
	s_delay_alu instid0(VALU_DEP_3) | instskip(NEXT) | instid1(VALU_DEP_3)
	v_mov_b32_e32 v54, v57
	v_mad_co_u64_u32 v[40:41], null, s8, v59, 0
	v_add_co_u32 v45, vcc_lo, v49, v46
	s_wait_alu 0xfffd
	v_add_co_ci_u32_e32 v46, vcc_lo, v50, v47, vcc_lo
	v_lshlrev_b64_e32 v[51:52], 3, v[51:52]
	v_lshlrev_b64_e32 v[53:54], 3, v[53:54]
	s_wait_dscnt 0x5
	v_mad_co_u64_u32 v[58:59], null, s9, v59, v[41:42]
	s_delay_alu instid0(VALU_DEP_3)
	v_add_co_u32 v51, vcc_lo, v49, v51
	s_wait_alu 0xfffd
	v_add_co_ci_u32_e32 v52, vcc_lo, v50, v52, vcc_lo
	s_wait_loadcnt_dscnt 0x400
	v_mul_f32_e32 v41, v18, v31
	s_wait_loadcnt 0x3
	v_mul_f32_e32 v47, v4, v37
	v_mul_f32_e32 v37, v5, v37
	s_wait_loadcnt 0x1
	v_dual_mul_f32 v31, v19, v31 :: v_dual_mul_f32 v60, v0, v33
	v_dual_mul_f32 v57, v6, v39 :: v_dual_mul_f32 v62, v12, v25
	v_mul_f32_e32 v33, v1, v33
	s_wait_loadcnt 0x0
	v_dual_mul_f32 v25, v13, v25 :: v_dual_mul_f32 v64, v10, v23
	v_fma_f32 v19, v19, v30, -v41
	v_fma_f32 v5, v5, v36, -v47
	v_fmac_f32_e32 v33, v0, v32
	v_fmac_f32_e32 v37, v4, v36
	v_fma_f32 v4, v7, v38, -v57
	v_fmac_f32_e32 v25, v12, v24
	v_mul_f32_e32 v63, v2, v35
	v_mul_f32_e32 v35, v3, v35
	v_fmac_f32_e32 v31, v18, v30
	v_mul_f32_e32 v65, v8, v21
	v_mul_f32_e32 v56, v16, v29
	v_fma_f32 v0, v13, v24, -v62
	v_fmac_f32_e32 v35, v2, v34
	v_fma_f32 v2, v11, v22, -v64
	v_mul_f32_e32 v39, v7, v39
	v_add_f32_e32 v7, v19, v5
	v_mul_f32_e32 v21, v9, v21
	v_fma_f32 v3, v3, v34, -v63
	v_mul_f32_e32 v29, v17, v29
	s_delay_alu instid0(VALU_DEP_4) | instskip(NEXT) | instid1(VALU_DEP_4)
	v_dual_fmac_f32 v39, v6, v38 :: v_dual_mul_f32 v62, 0xbf27a4f4, v7
	v_dual_fmac_f32 v21, v8, v20 :: v_dual_sub_f32 v8, v37, v31
	v_fma_f32 v6, v9, v20, -v65
	v_sub_f32_e32 v34, v3, v0
	v_fmac_f32_e32 v29, v16, v28
	v_fma_f32 v1, v1, v32, -v60
	v_sub_f32_e32 v20, v5, v19
	v_dual_add_f32 v16, v2, v6 :: v_dual_mul_f32 v23, v11, v23
	v_fma_f32 v17, v17, v28, -v56
	s_delay_alu instid0(VALU_DEP_3) | instskip(NEXT) | instid1(VALU_DEP_3)
	v_dual_add_f32 v13, v0, v3 :: v_dual_mul_f32 v78, 0xbf68dda4, v20
	v_dual_mul_f32 v66, 0x3ed4b147, v16 :: v_dual_fmac_f32 v23, v10, v22
	v_add_f32_e32 v22, v42, v37
	v_mul_f32_e32 v72, 0xbf27a4f4, v16
	v_mul_f32_e32 v60, 0xbe903f40, v20
	;; [unrolled: 1-line block ×3, first 2 shown]
	v_sub_f32_e32 v24, v21, v23
	v_mul_f32_e32 v59, v14, v27
	v_mul_f32_e32 v27, v15, v27
	s_delay_alu instid0(VALU_DEP_1) | instskip(NEXT) | instid1(VALU_DEP_1)
	v_fmac_f32_e32 v27, v14, v26
	v_sub_f32_e32 v12, v33, v27
	v_add_f32_e32 v18, v31, v37
	v_sub_f32_e32 v10, v39, v29
	v_fma_f32 v15, v15, v26, -v59
	v_sub_f32_e32 v26, v4, v17
	v_dual_add_f32 v28, v29, v39 :: v_dual_mul_f32 v65, 0xbf75a155, v13
	s_delay_alu instid0(VALU_DEP_3) | instskip(SKIP_2) | instid1(VALU_DEP_3)
	v_dual_fmamk_f32 v98, v18, 0xbf75a155, v60 :: v_dual_add_f32 v11, v15, v1
	v_dual_sub_f32 v30, v1, v15 :: v_dual_sub_f32 v37, v6, v2
	v_dual_mul_f32 v67, 0xbf4178ce, v20 :: v_dual_add_f32 v32, v27, v33
	v_mul_f32_e32 v70, 0x3ed4b147, v11
	s_delay_alu instid0(VALU_DEP_3) | instskip(SKIP_3) | instid1(VALU_DEP_4)
	v_dual_mul_f32 v82, 0xbf4178ce, v30 :: v_dual_add_f32 v9, v17, v4
	v_dual_mul_f32 v68, 0xbe11bafb, v7 :: v_dual_add_f32 v5, v43, v5
	v_mul_f32_e32 v74, 0x3ed4b147, v7
	v_mul_f32_e32 v41, 0xbf75a155, v7
	v_dual_mul_f32 v47, 0x3f575c64, v9 :: v_dual_mul_f32 v64, 0x3f575c64, v11
	s_delay_alu instid0(VALU_DEP_4)
	v_add_f32_e32 v4, v5, v4
	v_add_f32_e32 v38, v23, v21
	v_sub_f32_e32 v14, v35, v25
	v_dual_add_f32 v36, v25, v35 :: v_dual_mul_f32 v73, 0xbf7d64f0, v20
	v_mul_f32_e32 v76, 0xbf75a155, v11
	v_dual_mul_f32 v20, 0xbf0a6770, v20 :: v_dual_add_f32 v5, v22, v39
	v_dual_mul_f32 v39, 0x3e903f40, v26 :: v_dual_fmamk_f32 v94, v8, 0x3e903f40, v41
	v_mul_f32_e32 v83, 0xbf0a6770, v30
	v_dual_mul_f32 v84, 0x3f68dda4, v30 :: v_dual_mul_f32 v91, 0x3f68dda4, v37
	v_dual_mul_f32 v85, 0x3e903f40, v30 :: v_dual_fmamk_f32 v102, v14, 0x3e903f40, v65
	v_mul_f32_e32 v30, 0xbf7d64f0, v30
	v_dual_mul_f32 v59, 0xbe11bafb, v16 :: v_dual_fmamk_f32 v108, v18, 0xbe11bafb, v73
	v_dual_mul_f32 v88, 0xbf0a6770, v34 :: v_dual_fmamk_f32 v95, v10, 0xbf0a6770, v47
	v_mul_f32_e32 v79, 0x3f575c64, v16
	v_dual_mul_f32 v16, 0x3f0a6770, v26 :: v_dual_mul_f32 v93, 0x3f0a6770, v37
	v_mul_f32_e32 v7, 0x3f575c64, v7
	v_dual_mul_f32 v89, 0x3f7d64f0, v34 :: v_dual_fmamk_f32 v104, v8, 0x3f7d64f0, v68
	v_fmamk_f32 v103, v18, 0xbf27a4f4, v67
	v_fmac_f32_e32 v41, 0xbe903f40, v8
	v_fmac_f32_e32 v68, 0xbf7d64f0, v8
	v_fma_f32 v67, 0xbf27a4f4, v18, -v67
	v_mul_f32_e32 v56, 0xbf27a4f4, v11
	v_dual_mul_f32 v63, 0xbe11bafb, v9 :: v_dual_fmamk_f32 v124, v32, 0xbe11bafb, v30
	v_dual_mul_f32 v69, 0xbf75a155, v9 :: v_dual_fmamk_f32 v120, v28, 0xbf75a155, v39
	v_mul_f32_e32 v71, 0x3f575c64, v13
	v_mul_f32_e32 v11, 0xbe11bafb, v11
	v_dual_mul_f32 v22, 0x3f7d64f0, v26 :: v_dual_add_f32 v1, v4, v1
	v_dual_mul_f32 v81, 0xbf4178ce, v26 :: v_dual_mul_f32 v92, 0xbf4178ce, v37
	v_mul_f32_e32 v26, 0xbf68dda4, v26
	v_mul_f32_e32 v57, 0x3ed4b147, v13
	v_dual_mul_f32 v86, 0x3f68dda4, v34 :: v_dual_fmamk_f32 v109, v8, 0x3f68dda4, v74
	v_mul_f32_e32 v87, 0xbe903f40, v34
	v_mul_f32_e32 v34, 0xbf4178ce, v34
	;; [unrolled: 1-line block ×6, first 2 shown]
	v_dual_mul_f32 v13, 0xbf27a4f4, v13 :: v_dual_fmamk_f32 v130, v38, 0xbf27a4f4, v92
	v_dual_fmamk_f32 v111, v18, 0x3ed4b147, v78 :: v_dual_add_f32 v68, v43, v68
	v_fmamk_f32 v112, v8, 0x3f0a6770, v7
	v_dual_fmac_f32 v74, 0xbf68dda4, v8 :: v_dual_add_f32 v67, v42, v67
	v_fmac_f32_e32 v7, 0xbf0a6770, v8
	v_fma_f32 v60, 0xbf75a155, v18, -v60
	v_fma_f32 v78, 0x3ed4b147, v18, -v78
	s_delay_alu instid0(VALU_DEP_4)
	v_add_f32_e32 v74, v43, v74
	v_add_f32_e32 v4, v5, v33
	v_mul_f32_e32 v37, 0xbe903f40, v37
	v_fmamk_f32 v96, v12, 0x3f4178ce, v56
	v_fmamk_f32 v100, v10, 0xbf7d64f0, v63
	;; [unrolled: 1-line block ×5, first 2 shown]
	v_fma_f32 v73, 0xbe11bafb, v18, -v73
	v_fmamk_f32 v113, v14, 0xbf7d64f0, v77
	v_dual_fmamk_f32 v114, v10, 0x3f68dda4, v9 :: v_dual_add_f32 v7, v43, v7
	v_fmac_f32_e32 v47, 0x3f0a6770, v10
	v_fmac_f32_e32 v69, 0x3e903f40, v10
	;; [unrolled: 1-line block ×5, first 2 shown]
	v_dual_fmac_f32 v65, 0xbe903f40, v14 :: v_dual_add_f32 v60, v42, v60
	v_fmac_f32_e32 v77, 0x3f7d64f0, v14
	v_fmamk_f32 v119, v28, 0xbe11bafb, v22
	v_fmamk_f32 v115, v24, 0xbf68dda4, v66
	v_fmac_f32_e32 v66, 0x3f68dda4, v24
	v_fmamk_f32 v121, v28, 0xbf27a4f4, v81
	v_fmamk_f32 v116, v24, 0x3f4178ce, v72
	v_fma_f32 v81, 0xbf27a4f4, v28, -v81
	v_fmamk_f32 v122, v28, 0x3ed4b147, v26
	v_fmamk_f32 v97, v14, 0xbf68dda4, v57
	v_dual_fmac_f32 v70, 0x3f68dda4, v12 :: v_dual_fmac_f32 v57, 0x3f68dda4, v14
	v_fmamk_f32 v126, v36, 0x3f575c64, v88
	v_fmamk_f32 v117, v24, 0xbf0a6770, v79
	;; [unrolled: 1-line block ×3, first 2 shown]
	v_dual_fmamk_f32 v99, v8, 0x3f4178ce, v62 :: v_dual_fmamk_f32 v110, v10, 0x3f4178ce, v75
	v_dual_fmac_f32 v62, 0xbf4178ce, v8 :: v_dual_fmac_f32 v75, 0xbf4178ce, v10
	v_fmamk_f32 v8, v18, 0x3f575c64, v20
	v_fmamk_f32 v107, v14, 0x3f0a6770, v71
	v_fma_f32 v18, 0x3f575c64, v18, -v20
	s_delay_alu instid0(VALU_DEP_4)
	v_add_f32_e32 v62, v43, v62
	v_fmamk_f32 v20, v12, 0xbe903f40, v76
	v_dual_fmac_f32 v63, 0x3f7d64f0, v10 :: v_dual_add_f32 v8, v42, v8
	v_dual_fmamk_f32 v10, v12, 0x3f7d64f0, v11 :: v_dual_add_f32 v73, v42, v73
	v_fmac_f32_e32 v76, 0x3e903f40, v12
	v_dual_fmac_f32 v11, 0xbf7d64f0, v12 :: v_dual_add_f32 v78, v42, v78
	v_dual_fmamk_f32 v12, v14, 0x3f4178ce, v13 :: v_dual_add_f32 v1, v1, v3
	v_fmac_f32_e32 v71, 0xbf0a6770, v14
	v_fmac_f32_e32 v13, 0xbf4178ce, v14
	v_fmamk_f32 v14, v24, 0x3f7d64f0, v59
	v_dual_fmac_f32 v59, 0xbf7d64f0, v24 :: v_dual_add_f32 v18, v42, v18
	v_dual_fmac_f32 v72, 0xbf4178ce, v24 :: v_dual_add_f32 v1, v1, v6
	v_fmac_f32_e32 v79, 0x3f0a6770, v24
	v_add_f32_e32 v3, v4, v35
	v_fmamk_f32 v118, v24, 0x3e903f40, v80
	v_fmac_f32_e32 v80, 0xbe903f40, v24
	v_fmamk_f32 v24, v28, 0x3f575c64, v16
	v_fma_f32 v16, 0x3f575c64, v28, -v16
	v_add_f32_e32 v3, v3, v21
	v_fma_f32 v22, 0xbe11bafb, v28, -v22
	v_fma_f32 v39, 0xbf75a155, v28, -v39
	v_fma_f32 v26, 0x3ed4b147, v28, -v26
	v_fmamk_f32 v5, v32, 0xbf27a4f4, v82
	v_fma_f32 v28, 0xbf27a4f4, v32, -v82
	v_dual_add_f32 v22, v67, v22 :: v_dual_fmamk_f32 v33, v32, 0x3f575c64, v83
	v_fma_f32 v82, 0x3f575c64, v32, -v83
	v_fmamk_f32 v83, v32, 0x3ed4b147, v84
	v_fma_f32 v84, 0x3ed4b147, v32, -v84
	v_fma_f32 v30, 0xbe11bafb, v32, -v30
	v_fmamk_f32 v125, v36, 0xbf75a155, v87
	v_fma_f32 v87, 0xbf75a155, v36, -v87
	;; [unrolled: 3-line block ×3, first 2 shown]
	v_fma_f32 v34, 0xbf27a4f4, v36, -v34
	v_dual_fmamk_f32 v129, v38, 0x3ed4b147, v91 :: v_dual_add_f32 v8, v8, v122
	v_fma_f32 v91, 0x3ed4b147, v38, -v91
	v_fma_f32 v92, 0xbf27a4f4, v38, -v92
	v_dual_fmamk_f32 v131, v38, 0x3f575c64, v93 :: v_dual_add_f32 v16, v60, v16
	v_fma_f32 v93, 0x3f575c64, v38, -v93
	v_fmamk_f32 v132, v38, 0xbf75a155, v37
	v_fma_f32 v37, 0xbf75a155, v38, -v37
	v_dual_add_f32 v60, v78, v81 :: v_dual_fmamk_f32 v123, v32, 0xbf75a155, v85
	v_fma_f32 v85, 0xbf75a155, v32, -v85
	v_fmamk_f32 v32, v36, 0x3ed4b147, v86
	v_fma_f32 v86, 0x3ed4b147, v36, -v86
	v_fmamk_f32 v36, v38, 0xbe11bafb, v90
	v_fma_f32 v90, 0xbe11bafb, v38, -v90
	v_add_f32_e32 v38, v43, v94
	v_add_f32_e32 v94, v42, v98
	;; [unrolled: 1-line block ×6, first 2 shown]
	v_dual_add_f32 v108, v43, v109 :: v_dual_add_f32 v109, v42, v111
	v_add_f32_e32 v111, v43, v112
	v_dual_add_f32 v41, v43, v41 :: v_dual_add_f32 v4, v38, v95
	v_add_f32_e32 v24, v94, v24
	s_delay_alu instid0(VALU_DEP_3)
	v_dual_add_f32 v35, v98, v100 :: v_dual_add_f32 v98, v111, v114
	v_add_f32_e32 v38, v99, v119
	v_dual_add_f32 v42, v103, v105 :: v_dual_add_f32 v43, v104, v120
	v_add_f32_e32 v94, v108, v110
	v_add_f32_e32 v6, v41, v47
	;; [unrolled: 1-line block ×3, first 2 shown]
	v_dual_add_f32 v21, v62, v63 :: v_dual_add_f32 v4, v4, v96
	v_dual_add_f32 v41, v68, v69 :: v_dual_add_f32 v10, v98, v10
	;; [unrolled: 1-line block ×3, first 2 shown]
	v_add_f32_e32 v47, v74, v75
	v_add_f32_e32 v7, v7, v9
	;; [unrolled: 1-line block ×5, first 2 shown]
	v_dual_add_f32 v1, v2, v1 :: v_dual_add_f32 v2, v23, v3
	v_add_f32_e32 v24, v38, v33
	v_dual_add_f32 v26, v42, v106 :: v_dual_add_f32 v33, v43, v83
	v_add_f32_e32 v38, v60, v85
	v_dual_add_f32 v20, v94, v20 :: v_dual_add_f32 v35, v95, v123
	v_dual_add_f32 v4, v4, v97 :: v_dual_add_f32 v3, v6, v56
	v_add_f32_e32 v6, v16, v28
	v_dual_add_f32 v16, v21, v64 :: v_dual_add_f32 v21, v22, v82
	s_delay_alu instid0(VALU_DEP_4)
	v_add_f32_e32 v20, v20, v113
	v_dual_add_f32 v22, v41, v70 :: v_dual_add_f32 v23, v39, v84
	v_add_f32_e32 v28, v47, v76
	v_add_f32_e32 v7, v7, v11
	;; [unrolled: 1-line block ×3, first 2 shown]
	v_dual_add_f32 v11, v18, v102 :: v_dual_add_f32 v8, v8, v128
	v_dual_add_f32 v10, v10, v12 :: v_dual_add_f32 v25, v25, v2
	;; [unrolled: 1-line block ×3, first 2 shown]
	v_add_f32_e32 v30, v35, v127
	v_add_f32_e32 v18, v24, v125
	;; [unrolled: 1-line block ×4, first 2 shown]
	v_dual_add_f32 v32, v3, v57 :: v_dual_add_f32 v33, v6, v86
	v_dual_add_f32 v16, v16, v65 :: v_dual_add_f32 v21, v21, v87
	;; [unrolled: 1-line block ×6, first 2 shown]
	v_add_f32_e32 v12, v15, v12
	v_dual_add_f32 v14, v27, v25 :: v_dual_add_f32 v15, v22, v72
	v_add_f32_e32 v2, v18, v129
	v_dual_add_f32 v6, v30, v131 :: v_dual_add_f32 v13, v16, v66
	s_delay_alu instid0(VALU_DEP_4) | instskip(NEXT) | instid1(VALU_DEP_4)
	v_dual_add_f32 v16, v17, v12 :: v_dual_mov_b32 v41, v58
	v_add_f32_e32 v18, v29, v14
	v_dual_add_f32 v9, v10, v118 :: v_dual_add_f32 v8, v8, v132
	s_delay_alu instid0(VALU_DEP_3) | instskip(SKIP_1) | instid1(VALU_DEP_4)
	v_dual_add_f32 v10, v33, v90 :: v_dual_add_f32 v17, v19, v16
	v_dual_add_f32 v12, v21, v91 :: v_dual_add_f32 v21, v38, v80
	v_dual_add_f32 v16, v31, v18 :: v_dual_add_nc_u32 v27, 0xb4, v48
	v_add_co_u32 v22, vcc_lo, v49, v53
	v_dual_add_f32 v0, v5, v36 :: v_dual_add_f32 v7, v20, v117
	global_store_b64 v[45:46], v[16:17], off
	v_mad_co_u64_u32 v[16:17], null, s8, v61, 0
	global_store_b64 v[51:52], v[8:9], off
	v_add_f32_e32 v5, v24, v116
	v_lshlrev_b64_e32 v[24:25], 3, v[40:41]
	v_dual_mov_b32 v45, v55 :: v_dual_add_f32 v4, v26, v130
	v_dual_add_f32 v11, v32, v59 :: v_dual_mov_b32 v8, v17
	v_dual_add_f32 v19, v28, v79 :: v_dual_add_nc_u32 v28, 0xc8, v48
	s_delay_alu instid0(VALU_DEP_2) | instskip(SKIP_3) | instid1(VALU_DEP_3)
	v_mad_co_u64_u32 v[8:9], null, s9, v61, v[8:9]
	v_add_f32_e32 v14, v23, v92
	s_wait_alu 0xfffd
	v_add_co_ci_u32_e32 v23, vcc_lo, v50, v54, vcc_lo
	v_mov_b32_e32 v17, v8
	global_store_b64 v[22:23], v[6:7], off
	v_lshlrev_b64_e32 v[6:7], 3, v[44:45]
	v_add_co_u32 v22, vcc_lo, v49, v24
	v_add_nc_u32_e32 v24, 0x78, v48
	s_wait_alu 0xfffd
	v_add_co_ci_u32_e32 v23, vcc_lo, v50, v25, vcc_lo
	s_delay_alu instid0(VALU_DEP_4) | instskip(NEXT) | instid1(VALU_DEP_3)
	v_add_co_u32 v6, vcc_lo, v49, v6
	v_mad_co_u64_u32 v[8:9], null, s8, v24, 0
	s_wait_alu 0xfffd
	v_add_co_ci_u32_e32 v7, vcc_lo, v50, v7, vcc_lo
	global_store_b64 v[22:23], v[4:5], off
	v_add_nc_u32_e32 v22, 0x8c, v48
	v_or_b32_e32 v25, 0xa0, v48
	global_store_b64 v[6:7], v[2:3], off
	v_mov_b32_e32 v6, v9
	v_lshlrev_b64_e32 v[2:3], 3, v[16:17]
	v_mad_co_u64_u32 v[4:5], null, s8, v22, 0
	v_mad_co_u64_u32 v[16:17], null, s8, v25, 0
	s_delay_alu instid0(VALU_DEP_4) | instskip(SKIP_4) | instid1(VALU_DEP_4)
	v_mad_co_u64_u32 v[6:7], null, s9, v24, v[6:7]
	v_add_f32_e32 v18, v35, v93
	v_add_co_u32 v2, vcc_lo, v49, v2
	s_wait_alu 0xfffd
	v_add_co_ci_u32_e32 v3, vcc_lo, v50, v3, vcc_lo
	v_mad_co_u64_u32 v[22:23], null, s9, v22, v[5:6]
	v_mov_b32_e32 v5, v17
	v_mad_co_u64_u32 v[23:24], null, s8, v27, 0
	v_mov_b32_e32 v9, v6
	global_store_b64 v[2:3], v[0:1], off
	v_mad_co_u64_u32 v[25:26], null, s9, v25, v[5:6]
	v_mad_co_u64_u32 v[6:7], null, s8, v28, 0
	v_lshlrev_b64_e32 v[1:2], 3, v[8:9]
	v_dual_mov_b32 v0, v24 :: v_dual_mov_b32 v5, v22
	s_delay_alu instid0(VALU_DEP_4) | instskip(NEXT) | instid1(VALU_DEP_2)
	v_dual_add_f32 v20, v34, v37 :: v_dual_mov_b32 v17, v25
	v_mad_co_u64_u32 v[8:9], null, s9, v27, v[0:1]
	v_mov_b32_e32 v0, v7
	v_add_co_u32 v1, vcc_lo, v49, v1
	v_lshlrev_b64_e32 v[3:4], 3, v[4:5]
	v_lshlrev_b64_e32 v[16:17], 3, v[16:17]
	s_wait_alu 0xfffd
	v_add_co_ci_u32_e32 v2, vcc_lo, v50, v2, vcc_lo
	v_mad_co_u64_u32 v[25:26], null, s9, v28, v[0:1]
	v_mov_b32_e32 v24, v8
	v_add_co_u32 v3, vcc_lo, v49, v3
	s_wait_alu 0xfffd
	v_add_co_ci_u32_e32 v4, vcc_lo, v50, v4, vcc_lo
	s_delay_alu instid0(VALU_DEP_3) | instskip(SKIP_4) | instid1(VALU_DEP_3)
	v_lshlrev_b64_e32 v[8:9], 3, v[23:24]
	v_mov_b32_e32 v7, v25
	v_add_co_u32 v16, vcc_lo, v49, v16
	s_wait_alu 0xfffd
	v_add_co_ci_u32_e32 v17, vcc_lo, v50, v17, vcc_lo
	v_lshlrev_b64_e32 v[5:6], 3, v[6:7]
	v_add_co_u32 v7, vcc_lo, v49, v8
	s_wait_alu 0xfffd
	v_add_co_ci_u32_e32 v8, vcc_lo, v50, v9, vcc_lo
	s_delay_alu instid0(VALU_DEP_3)
	v_add_co_u32 v5, vcc_lo, v49, v5
	s_wait_alu 0xfffd
	v_add_co_ci_u32_e32 v6, vcc_lo, v50, v6, vcc_lo
	s_clause 0x4
	global_store_b64 v[1:2], v[10:11], off
	global_store_b64 v[3:4], v[12:13], off
	;; [unrolled: 1-line block ×5, first 2 shown]
	s_nop 0
	s_sendmsg sendmsg(MSG_DEALLOC_VGPRS)
	s_endpgm
	.section	.rodata,"a",@progbits
	.p2align	6, 0x0
	.amdhsa_kernel fft_rtc_back_len220_factors_10_2_11_wgs_110_tpt_22_sp_ip_CI_sbrr_dirReg
		.amdhsa_group_segment_fixed_size 0
		.amdhsa_private_segment_fixed_size 0
		.amdhsa_kernarg_size 88
		.amdhsa_user_sgpr_count 2
		.amdhsa_user_sgpr_dispatch_ptr 0
		.amdhsa_user_sgpr_queue_ptr 0
		.amdhsa_user_sgpr_kernarg_segment_ptr 1
		.amdhsa_user_sgpr_dispatch_id 0
		.amdhsa_user_sgpr_private_segment_size 0
		.amdhsa_wavefront_size32 1
		.amdhsa_uses_dynamic_stack 0
		.amdhsa_enable_private_segment 0
		.amdhsa_system_sgpr_workgroup_id_x 1
		.amdhsa_system_sgpr_workgroup_id_y 0
		.amdhsa_system_sgpr_workgroup_id_z 0
		.amdhsa_system_sgpr_workgroup_info 0
		.amdhsa_system_vgpr_workitem_id 0
		.amdhsa_next_free_vgpr 133
		.amdhsa_next_free_sgpr 35
		.amdhsa_reserve_vcc 1
		.amdhsa_float_round_mode_32 0
		.amdhsa_float_round_mode_16_64 0
		.amdhsa_float_denorm_mode_32 3
		.amdhsa_float_denorm_mode_16_64 3
		.amdhsa_fp16_overflow 0
		.amdhsa_workgroup_processor_mode 1
		.amdhsa_memory_ordered 1
		.amdhsa_forward_progress 0
		.amdhsa_round_robin_scheduling 0
		.amdhsa_exception_fp_ieee_invalid_op 0
		.amdhsa_exception_fp_denorm_src 0
		.amdhsa_exception_fp_ieee_div_zero 0
		.amdhsa_exception_fp_ieee_overflow 0
		.amdhsa_exception_fp_ieee_underflow 0
		.amdhsa_exception_fp_ieee_inexact 0
		.amdhsa_exception_int_div_zero 0
	.end_amdhsa_kernel
	.text
.Lfunc_end0:
	.size	fft_rtc_back_len220_factors_10_2_11_wgs_110_tpt_22_sp_ip_CI_sbrr_dirReg, .Lfunc_end0-fft_rtc_back_len220_factors_10_2_11_wgs_110_tpt_22_sp_ip_CI_sbrr_dirReg
                                        ; -- End function
	.section	.AMDGPU.csdata,"",@progbits
; Kernel info:
; codeLenInByte = 7120
; NumSgprs: 37
; NumVgprs: 133
; ScratchSize: 0
; MemoryBound: 0
; FloatMode: 240
; IeeeMode: 1
; LDSByteSize: 0 bytes/workgroup (compile time only)
; SGPRBlocks: 4
; VGPRBlocks: 16
; NumSGPRsForWavesPerEU: 37
; NumVGPRsForWavesPerEU: 133
; Occupancy: 10
; WaveLimiterHint : 1
; COMPUTE_PGM_RSRC2:SCRATCH_EN: 0
; COMPUTE_PGM_RSRC2:USER_SGPR: 2
; COMPUTE_PGM_RSRC2:TRAP_HANDLER: 0
; COMPUTE_PGM_RSRC2:TGID_X_EN: 1
; COMPUTE_PGM_RSRC2:TGID_Y_EN: 0
; COMPUTE_PGM_RSRC2:TGID_Z_EN: 0
; COMPUTE_PGM_RSRC2:TIDIG_COMP_CNT: 0
	.text
	.p2alignl 7, 3214868480
	.fill 96, 4, 3214868480
	.type	__hip_cuid_13456480c56b48f0,@object ; @__hip_cuid_13456480c56b48f0
	.section	.bss,"aw",@nobits
	.globl	__hip_cuid_13456480c56b48f0
__hip_cuid_13456480c56b48f0:
	.byte	0                               ; 0x0
	.size	__hip_cuid_13456480c56b48f0, 1

	.ident	"AMD clang version 19.0.0git (https://github.com/RadeonOpenCompute/llvm-project roc-6.4.0 25133 c7fe45cf4b819c5991fe208aaa96edf142730f1d)"
	.section	".note.GNU-stack","",@progbits
	.addrsig
	.addrsig_sym __hip_cuid_13456480c56b48f0
	.amdgpu_metadata
---
amdhsa.kernels:
  - .args:
      - .actual_access:  read_only
        .address_space:  global
        .offset:         0
        .size:           8
        .value_kind:     global_buffer
      - .offset:         8
        .size:           8
        .value_kind:     by_value
      - .actual_access:  read_only
        .address_space:  global
        .offset:         16
        .size:           8
        .value_kind:     global_buffer
      - .actual_access:  read_only
        .address_space:  global
        .offset:         24
        .size:           8
        .value_kind:     global_buffer
      - .offset:         32
        .size:           8
        .value_kind:     by_value
      - .actual_access:  read_only
        .address_space:  global
        .offset:         40
        .size:           8
        .value_kind:     global_buffer
      - .actual_access:  read_only
        .address_space:  global
        .offset:         48
        .size:           8
        .value_kind:     global_buffer
      - .offset:         56
        .size:           4
        .value_kind:     by_value
      - .actual_access:  read_only
        .address_space:  global
        .offset:         64
        .size:           8
        .value_kind:     global_buffer
      - .actual_access:  read_only
        .address_space:  global
        .offset:         72
        .size:           8
        .value_kind:     global_buffer
      - .address_space:  global
        .offset:         80
        .size:           8
        .value_kind:     global_buffer
    .group_segment_fixed_size: 0
    .kernarg_segment_align: 8
    .kernarg_segment_size: 88
    .language:       OpenCL C
    .language_version:
      - 2
      - 0
    .max_flat_workgroup_size: 110
    .name:           fft_rtc_back_len220_factors_10_2_11_wgs_110_tpt_22_sp_ip_CI_sbrr_dirReg
    .private_segment_fixed_size: 0
    .sgpr_count:     37
    .sgpr_spill_count: 0
    .symbol:         fft_rtc_back_len220_factors_10_2_11_wgs_110_tpt_22_sp_ip_CI_sbrr_dirReg.kd
    .uniform_work_group_size: 1
    .uses_dynamic_stack: false
    .vgpr_count:     133
    .vgpr_spill_count: 0
    .wavefront_size: 32
    .workgroup_processor_mode: 1
amdhsa.target:   amdgcn-amd-amdhsa--gfx1201
amdhsa.version:
  - 1
  - 2
...

	.end_amdgpu_metadata
